;; amdgpu-corpus repo=ROCm/rocFFT kind=compiled arch=gfx1030 opt=O3
	.text
	.amdgcn_target "amdgcn-amd-amdhsa--gfx1030"
	.amdhsa_code_object_version 6
	.protected	fft_rtc_fwd_len500_factors_10_5_10_wgs_100_tpt_100_halfLds_sp_ip_CI_unitstride_sbrr_R2C_dirReg ; -- Begin function fft_rtc_fwd_len500_factors_10_5_10_wgs_100_tpt_100_halfLds_sp_ip_CI_unitstride_sbrr_R2C_dirReg
	.globl	fft_rtc_fwd_len500_factors_10_5_10_wgs_100_tpt_100_halfLds_sp_ip_CI_unitstride_sbrr_R2C_dirReg
	.p2align	8
	.type	fft_rtc_fwd_len500_factors_10_5_10_wgs_100_tpt_100_halfLds_sp_ip_CI_unitstride_sbrr_R2C_dirReg,@function
fft_rtc_fwd_len500_factors_10_5_10_wgs_100_tpt_100_halfLds_sp_ip_CI_unitstride_sbrr_R2C_dirReg: ; @fft_rtc_fwd_len500_factors_10_5_10_wgs_100_tpt_100_halfLds_sp_ip_CI_unitstride_sbrr_R2C_dirReg
; %bb.0:
	s_clause 0x2
	s_load_dwordx4 s[8:11], s[4:5], 0x0
	s_load_dwordx2 s[2:3], s[4:5], 0x50
	s_load_dwordx2 s[12:13], s[4:5], 0x18
	v_mul_u32_u24_e32 v1, 0x290, v0
	v_mov_b32_e32 v3, 0
	v_add_nc_u32_sdwa v5, s6, v1 dst_sel:DWORD dst_unused:UNUSED_PAD src0_sel:DWORD src1_sel:WORD_1
	v_mov_b32_e32 v1, 0
	v_mov_b32_e32 v6, v3
	v_mov_b32_e32 v2, 0
	s_waitcnt lgkmcnt(0)
	v_cmp_lt_u64_e64 s0, s[10:11], 2
	s_and_b32 vcc_lo, exec_lo, s0
	s_cbranch_vccnz .LBB0_8
; %bb.1:
	s_load_dwordx2 s[0:1], s[4:5], 0x10
	v_mov_b32_e32 v1, 0
	s_add_u32 s6, s12, 8
	v_mov_b32_e32 v2, 0
	s_addc_u32 s7, s13, 0
	s_mov_b64 s[16:17], 1
	s_waitcnt lgkmcnt(0)
	s_add_u32 s14, s0, 8
	s_addc_u32 s15, s1, 0
.LBB0_2:                                ; =>This Inner Loop Header: Depth=1
	s_load_dwordx2 s[18:19], s[14:15], 0x0
                                        ; implicit-def: $vgpr7_vgpr8
	s_mov_b32 s0, exec_lo
	s_waitcnt lgkmcnt(0)
	v_or_b32_e32 v4, s19, v6
	v_cmpx_ne_u64_e32 0, v[3:4]
	s_xor_b32 s1, exec_lo, s0
	s_cbranch_execz .LBB0_4
; %bb.3:                                ;   in Loop: Header=BB0_2 Depth=1
	v_cvt_f32_u32_e32 v4, s18
	v_cvt_f32_u32_e32 v7, s19
	s_sub_u32 s0, 0, s18
	s_subb_u32 s20, 0, s19
	v_fmac_f32_e32 v4, 0x4f800000, v7
	v_rcp_f32_e32 v4, v4
	v_mul_f32_e32 v4, 0x5f7ffffc, v4
	v_mul_f32_e32 v7, 0x2f800000, v4
	v_trunc_f32_e32 v7, v7
	v_fmac_f32_e32 v4, 0xcf800000, v7
	v_cvt_u32_f32_e32 v7, v7
	v_cvt_u32_f32_e32 v4, v4
	v_mul_lo_u32 v8, s0, v7
	v_mul_hi_u32 v9, s0, v4
	v_mul_lo_u32 v10, s20, v4
	v_add_nc_u32_e32 v8, v9, v8
	v_mul_lo_u32 v9, s0, v4
	v_add_nc_u32_e32 v8, v8, v10
	v_mul_hi_u32 v10, v4, v9
	v_mul_lo_u32 v11, v4, v8
	v_mul_hi_u32 v12, v4, v8
	v_mul_hi_u32 v13, v7, v9
	v_mul_lo_u32 v9, v7, v9
	v_mul_hi_u32 v14, v7, v8
	v_mul_lo_u32 v8, v7, v8
	v_add_co_u32 v10, vcc_lo, v10, v11
	v_add_co_ci_u32_e32 v11, vcc_lo, 0, v12, vcc_lo
	v_add_co_u32 v9, vcc_lo, v10, v9
	v_add_co_ci_u32_e32 v9, vcc_lo, v11, v13, vcc_lo
	v_add_co_ci_u32_e32 v10, vcc_lo, 0, v14, vcc_lo
	v_add_co_u32 v8, vcc_lo, v9, v8
	v_add_co_ci_u32_e32 v9, vcc_lo, 0, v10, vcc_lo
	v_add_co_u32 v4, vcc_lo, v4, v8
	v_add_co_ci_u32_e32 v7, vcc_lo, v7, v9, vcc_lo
	v_mul_hi_u32 v8, s0, v4
	v_mul_lo_u32 v10, s20, v4
	v_mul_lo_u32 v9, s0, v7
	v_add_nc_u32_e32 v8, v8, v9
	v_mul_lo_u32 v9, s0, v4
	v_add_nc_u32_e32 v8, v8, v10
	v_mul_hi_u32 v10, v4, v9
	v_mul_lo_u32 v11, v4, v8
	v_mul_hi_u32 v12, v4, v8
	v_mul_hi_u32 v13, v7, v9
	v_mul_lo_u32 v9, v7, v9
	v_mul_hi_u32 v14, v7, v8
	v_mul_lo_u32 v8, v7, v8
	v_add_co_u32 v10, vcc_lo, v10, v11
	v_add_co_ci_u32_e32 v11, vcc_lo, 0, v12, vcc_lo
	v_add_co_u32 v9, vcc_lo, v10, v9
	v_add_co_ci_u32_e32 v9, vcc_lo, v11, v13, vcc_lo
	v_add_co_ci_u32_e32 v10, vcc_lo, 0, v14, vcc_lo
	v_add_co_u32 v8, vcc_lo, v9, v8
	v_add_co_ci_u32_e32 v9, vcc_lo, 0, v10, vcc_lo
	v_add_co_u32 v4, vcc_lo, v4, v8
	v_add_co_ci_u32_e32 v11, vcc_lo, v7, v9, vcc_lo
	v_mul_hi_u32 v13, v5, v4
	v_mad_u64_u32 v[9:10], null, v6, v4, 0
	v_mad_u64_u32 v[7:8], null, v5, v11, 0
	;; [unrolled: 1-line block ×3, first 2 shown]
	v_add_co_u32 v4, vcc_lo, v13, v7
	v_add_co_ci_u32_e32 v7, vcc_lo, 0, v8, vcc_lo
	v_add_co_u32 v4, vcc_lo, v4, v9
	v_add_co_ci_u32_e32 v4, vcc_lo, v7, v10, vcc_lo
	v_add_co_ci_u32_e32 v7, vcc_lo, 0, v12, vcc_lo
	v_add_co_u32 v4, vcc_lo, v4, v11
	v_add_co_ci_u32_e32 v9, vcc_lo, 0, v7, vcc_lo
	v_mul_lo_u32 v10, s19, v4
	v_mad_u64_u32 v[7:8], null, s18, v4, 0
	v_mul_lo_u32 v11, s18, v9
	v_sub_co_u32 v7, vcc_lo, v5, v7
	v_add3_u32 v8, v8, v11, v10
	v_sub_nc_u32_e32 v10, v6, v8
	v_subrev_co_ci_u32_e64 v10, s0, s19, v10, vcc_lo
	v_add_co_u32 v11, s0, v4, 2
	v_add_co_ci_u32_e64 v12, s0, 0, v9, s0
	v_sub_co_u32 v13, s0, v7, s18
	v_sub_co_ci_u32_e32 v8, vcc_lo, v6, v8, vcc_lo
	v_subrev_co_ci_u32_e64 v10, s0, 0, v10, s0
	v_cmp_le_u32_e32 vcc_lo, s18, v13
	v_cmp_eq_u32_e64 s0, s19, v8
	v_cndmask_b32_e64 v13, 0, -1, vcc_lo
	v_cmp_le_u32_e32 vcc_lo, s19, v10
	v_cndmask_b32_e64 v14, 0, -1, vcc_lo
	v_cmp_le_u32_e32 vcc_lo, s18, v7
	;; [unrolled: 2-line block ×3, first 2 shown]
	v_cndmask_b32_e64 v15, 0, -1, vcc_lo
	v_cmp_eq_u32_e32 vcc_lo, s19, v10
	v_cndmask_b32_e64 v7, v15, v7, s0
	v_cndmask_b32_e32 v10, v14, v13, vcc_lo
	v_add_co_u32 v13, vcc_lo, v4, 1
	v_add_co_ci_u32_e32 v14, vcc_lo, 0, v9, vcc_lo
	v_cmp_ne_u32_e32 vcc_lo, 0, v10
	v_cndmask_b32_e32 v8, v14, v12, vcc_lo
	v_cndmask_b32_e32 v10, v13, v11, vcc_lo
	v_cmp_ne_u32_e32 vcc_lo, 0, v7
	v_cndmask_b32_e32 v8, v9, v8, vcc_lo
	v_cndmask_b32_e32 v7, v4, v10, vcc_lo
.LBB0_4:                                ;   in Loop: Header=BB0_2 Depth=1
	s_andn2_saveexec_b32 s0, s1
	s_cbranch_execz .LBB0_6
; %bb.5:                                ;   in Loop: Header=BB0_2 Depth=1
	v_cvt_f32_u32_e32 v4, s18
	s_sub_i32 s1, 0, s18
	v_rcp_iflag_f32_e32 v4, v4
	v_mul_f32_e32 v4, 0x4f7ffffe, v4
	v_cvt_u32_f32_e32 v4, v4
	v_mul_lo_u32 v7, s1, v4
	v_mul_hi_u32 v7, v4, v7
	v_add_nc_u32_e32 v4, v4, v7
	v_mul_hi_u32 v4, v5, v4
	v_mul_lo_u32 v7, v4, s18
	v_add_nc_u32_e32 v8, 1, v4
	v_sub_nc_u32_e32 v7, v5, v7
	v_subrev_nc_u32_e32 v9, s18, v7
	v_cmp_le_u32_e32 vcc_lo, s18, v7
	v_cndmask_b32_e32 v7, v7, v9, vcc_lo
	v_cndmask_b32_e32 v4, v4, v8, vcc_lo
	v_cmp_le_u32_e32 vcc_lo, s18, v7
	v_add_nc_u32_e32 v8, 1, v4
	v_cndmask_b32_e32 v7, v4, v8, vcc_lo
	v_mov_b32_e32 v8, v3
.LBB0_6:                                ;   in Loop: Header=BB0_2 Depth=1
	s_or_b32 exec_lo, exec_lo, s0
	s_load_dwordx2 s[0:1], s[6:7], 0x0
	v_mul_lo_u32 v4, v8, s18
	v_mul_lo_u32 v11, v7, s19
	v_mad_u64_u32 v[9:10], null, v7, s18, 0
	s_add_u32 s16, s16, 1
	s_addc_u32 s17, s17, 0
	s_add_u32 s6, s6, 8
	s_addc_u32 s7, s7, 0
	;; [unrolled: 2-line block ×3, first 2 shown]
	v_add3_u32 v4, v10, v11, v4
	v_sub_co_u32 v5, vcc_lo, v5, v9
	v_sub_co_ci_u32_e32 v4, vcc_lo, v6, v4, vcc_lo
	s_waitcnt lgkmcnt(0)
	v_mul_lo_u32 v6, s1, v5
	v_mul_lo_u32 v4, s0, v4
	v_mad_u64_u32 v[1:2], null, s0, v5, v[1:2]
	v_cmp_ge_u64_e64 s0, s[16:17], s[10:11]
	s_and_b32 vcc_lo, exec_lo, s0
	v_add3_u32 v2, v6, v2, v4
	s_cbranch_vccnz .LBB0_9
; %bb.7:                                ;   in Loop: Header=BB0_2 Depth=1
	v_mov_b32_e32 v5, v7
	v_mov_b32_e32 v6, v8
	s_branch .LBB0_2
.LBB0_8:
	v_mov_b32_e32 v8, v6
	v_mov_b32_e32 v7, v5
.LBB0_9:
	s_lshl_b64 s[0:1], s[10:11], 3
	v_mul_hi_u32 v3, 0x28f5c29, v0
	s_add_u32 s0, s12, s0
	s_addc_u32 s1, s13, s1
	s_load_dwordx2 s[0:1], s[0:1], 0x0
	s_load_dwordx2 s[4:5], s[4:5], 0x20
	v_mul_u32_u24_e32 v3, 0x64, v3
	v_sub_nc_u32_e32 v20, v0, v3
	v_lshl_add_u32 v24, v20, 3, 0
	s_waitcnt lgkmcnt(0)
	v_mul_lo_u32 v4, s0, v8
	v_mul_lo_u32 v5, s1, v7
	v_mad_u64_u32 v[1:2], null, s0, v7, v[1:2]
	v_cmp_gt_u64_e32 vcc_lo, s[4:5], v[7:8]
	v_add3_u32 v2, v5, v2, v4
	v_lshlrev_b64 v[22:23], 3, v[1:2]
	s_and_saveexec_b32 s1, vcc_lo
	s_cbranch_execz .LBB0_11
; %bb.10:
	v_mov_b32_e32 v21, 0
	v_add_co_u32 v2, s0, s2, v22
	v_add_co_ci_u32_e64 v3, s0, s3, v23, s0
	v_lshlrev_b64 v[0:1], 3, v[20:21]
	v_add_nc_u32_e32 v10, 0x400, v24
	v_add_co_u32 v0, s0, v2, v0
	v_add_co_ci_u32_e64 v1, s0, v3, v1, s0
	v_add_co_u32 v2, s0, 0x800, v0
	v_add_co_ci_u32_e64 v3, s0, 0, v1, s0
	s_clause 0x4
	global_load_dwordx2 v[4:5], v[0:1], off
	global_load_dwordx2 v[6:7], v[0:1], off offset:800
	global_load_dwordx2 v[0:1], v[0:1], off offset:1600
	;; [unrolled: 1-line block ×4, first 2 shown]
	s_waitcnt vmcnt(3)
	ds_write2_b64 v24, v[4:5], v[6:7] offset1:100
	s_waitcnt vmcnt(1)
	ds_write2_b64 v10, v[0:1], v[8:9] offset0:72 offset1:172
	s_waitcnt vmcnt(0)
	ds_write_b64 v24, v[2:3] offset:3200
.LBB0_11:
	s_or_b32 exec_lo, exec_lo, s1
	s_waitcnt lgkmcnt(0)
	s_barrier
	buffer_gl0_inv
	ds_read2_b64 v[2:5], v24 offset1:50
	ds_read2_b64 v[6:9], v24 offset0:100 offset1:150
	ds_read2_b64 v[25:28], v24 offset0:200 offset1:250
	v_add_nc_u32_e32 v0, 0x800, v24
	ds_read2_b64 v[29:32], v0 offset0:44 offset1:94
	ds_read2_b64 v[33:36], v0 offset0:144 offset1:194
	v_cmp_gt_u32_e64 s0, 50, v20
	s_waitcnt lgkmcnt(0)
	s_barrier
	buffer_gl0_inv
	v_add_f32_e32 v1, v2, v6
	v_sub_f32_e32 v10, v6, v25
	v_sub_f32_e32 v11, v25, v6
	v_add_f32_e32 v12, v3, v7
	v_sub_f32_e32 v21, v7, v26
	v_add_f32_e32 v1, v1, v25
	v_add_f32_e32 v13, v25, v29
	v_sub_f32_e32 v18, v7, v34
	v_sub_f32_e32 v14, v33, v29
	v_add_f32_e32 v15, v6, v33
	v_sub_f32_e32 v16, v29, v33
	v_sub_f32_e32 v25, v25, v29
	v_add_f32_e32 v29, v1, v29
	v_fma_f32 v1, -0.5, v13, v2
	v_sub_f32_e32 v17, v26, v30
	v_add_f32_e32 v19, v12, v26
	v_add_f32_e32 v10, v10, v14
	v_fma_f32 v12, -0.5, v15, v2
	v_fmamk_f32 v14, v18, 0x3f737871, v1
	v_fmac_f32_e32 v1, 0xbf737871, v18
	v_add_f32_e32 v37, v26, v30
	v_sub_f32_e32 v6, v6, v33
	v_fmamk_f32 v13, v17, 0xbf737871, v12
	v_fmac_f32_e32 v12, 0x3f737871, v17
	v_fmac_f32_e32 v14, 0x3f167918, v17
	v_fmac_f32_e32 v1, 0xbf167918, v17
	v_add_f32_e32 v38, v7, v34
	v_add_f32_e32 v2, v11, v16
	v_fma_f32 v16, -0.5, v37, v3
	v_fmac_f32_e32 v13, 0x3f167918, v18
	v_fmac_f32_e32 v12, 0xbf167918, v18
	;; [unrolled: 1-line block ×4, first 2 shown]
	v_sub_f32_e32 v10, v34, v30
	v_add_f32_e32 v11, v19, v30
	v_fmamk_f32 v17, v6, 0xbf737871, v16
	v_fmac_f32_e32 v13, 0x3e9e377a, v2
	v_fmac_f32_e32 v12, 0x3e9e377a, v2
	v_fma_f32 v19, -0.5, v38, v3
	v_add_f32_e32 v2, v21, v10
	v_fmac_f32_e32 v16, 0x3f737871, v6
	v_sub_f32_e32 v3, v26, v7
	v_sub_f32_e32 v7, v30, v34
	v_add_f32_e32 v10, v4, v8
	v_fmac_f32_e32 v17, 0xbf167918, v25
	v_fmamk_f32 v21, v25, 0x3f737871, v19
	v_fmac_f32_e32 v16, 0x3f167918, v25
	v_add_f32_e32 v3, v3, v7
	v_fmac_f32_e32 v19, 0xbf737871, v25
	v_add_f32_e32 v7, v10, v27
	v_add_f32_e32 v10, v27, v31
	v_fmac_f32_e32 v17, 0x3e9e377a, v2
	v_fmac_f32_e32 v21, 0xbf167918, v6
	v_fmac_f32_e32 v16, 0x3e9e377a, v2
	v_fmac_f32_e32 v19, 0x3f167918, v6
	v_add_f32_e32 v2, v7, v31
	v_fma_f32 v6, -0.5, v10, v4
	v_add_f32_e32 v7, v8, v35
	v_sub_f32_e32 v10, v9, v36
	v_add_f32_e32 v18, v11, v34
	v_fmac_f32_e32 v21, 0x3e9e377a, v3
	v_fmac_f32_e32 v19, 0x3e9e377a, v3
	v_add_f32_e32 v25, v2, v35
	v_sub_f32_e32 v2, v28, v32
	v_fma_f32 v3, -0.5, v7, v4
	v_fmamk_f32 v4, v10, 0x3f737871, v6
	v_sub_f32_e32 v7, v8, v27
	v_sub_f32_e32 v11, v35, v31
	v_fmac_f32_e32 v6, 0xbf737871, v10
	v_add_f32_e32 v15, v29, v33
	v_fmac_f32_e32 v4, 0x3f167918, v2
	v_fmamk_f32 v30, v2, 0xbf737871, v3
	v_add_f32_e32 v7, v7, v11
	v_fmac_f32_e32 v6, 0xbf167918, v2
	v_sub_f32_e32 v26, v27, v8
	v_sub_f32_e32 v29, v31, v35
	v_fmac_f32_e32 v3, 0x3f737871, v2
	v_fmac_f32_e32 v4, 0x3e9e377a, v7
	;; [unrolled: 1-line block ×3, first 2 shown]
	v_add_f32_e32 v2, v28, v32
	v_add_f32_e32 v7, v9, v36
	v_fmac_f32_e32 v30, 0x3f167918, v10
	v_add_f32_e32 v11, v26, v29
	v_fmac_f32_e32 v3, 0xbf167918, v10
	v_add_f32_e32 v10, v5, v9
	v_fma_f32 v2, -0.5, v2, v5
	v_sub_f32_e32 v8, v8, v35
	v_sub_f32_e32 v26, v27, v31
	v_fmac_f32_e32 v5, -0.5, v7
	v_fmac_f32_e32 v30, 0x3e9e377a, v11
	v_fmac_f32_e32 v3, 0x3e9e377a, v11
	v_add_f32_e32 v7, v10, v28
	v_fmamk_f32 v10, v8, 0xbf737871, v2
	v_sub_f32_e32 v11, v9, v28
	v_fmamk_f32 v33, v26, 0x3f737871, v5
	v_sub_f32_e32 v9, v28, v9
	v_sub_f32_e32 v27, v32, v36
	;; [unrolled: 1-line block ×3, first 2 shown]
	v_fmac_f32_e32 v5, 0xbf737871, v26
	v_fmac_f32_e32 v2, 0x3f737871, v8
	;; [unrolled: 1-line block ×3, first 2 shown]
	v_add_f32_e32 v9, v9, v27
	v_add_f32_e32 v11, v11, v28
	v_fmac_f32_e32 v5, 0x3f167918, v8
	v_fmac_f32_e32 v2, 0x3f167918, v26
	;; [unrolled: 1-line block ×3, first 2 shown]
	v_add_f32_e32 v7, v7, v32
	v_fmac_f32_e32 v33, 0x3e9e377a, v9
	v_fmac_f32_e32 v5, 0x3e9e377a, v9
	v_mul_f32_e32 v8, 0x3e9e377a, v3
	v_fmac_f32_e32 v2, 0x3e9e377a, v11
	v_fmac_f32_e32 v10, 0x3e9e377a, v11
	v_mul_f32_e32 v26, 0x3f4f1bbd, v4
	v_mul_f32_e32 v27, 0x3f737871, v33
	v_add_f32_e32 v28, v7, v36
	v_fma_f32 v29, 0x3f737871, v5, -v8
	v_mul_f32_e32 v7, 0x3f4f1bbd, v6
	v_mul_f32_e32 v31, 0xbf167918, v4
	;; [unrolled: 1-line block ×5, first 2 shown]
	v_fmac_f32_e32 v26, 0x3f167918, v10
	v_fmac_f32_e32 v27, 0x3e9e377a, v30
	v_fma_f32 v30, 0x3f167918, v2, -v7
	v_fmac_f32_e32 v31, 0x3f4f1bbd, v10
	v_fmac_f32_e32 v32, 0x3e9e377a, v33
	v_fma_f32 v33, 0xbf737871, v3, -v4
	v_fma_f32 v34, 0xbf167918, v6, -v5
	v_sub_f32_e32 v2, v15, v25
	v_sub_f32_e32 v4, v14, v26
	;; [unrolled: 1-line block ×10, first 2 shown]
	s_and_saveexec_b32 s1, s0
	s_cbranch_execz .LBB0_13
; %bb.12:
	v_add_f32_e32 v16, v16, v34
	v_add_f32_e32 v19, v19, v33
	;; [unrolled: 1-line block ×7, first 2 shown]
	v_mad_u32_u24 v12, 0x48, v20, v24
	v_add_f32_e32 v32, v21, v32
	v_add_f32_e32 v31, v13, v27
	;; [unrolled: 1-line block ×3, first 2 shown]
	ds_write2_b64 v12, v[35:36], v[33:34] offset1:1
	ds_write2_b64 v12, v[31:32], v[18:19] offset0:2 offset1:3
	ds_write2_b64 v12, v[15:16], v[2:3] offset0:4 offset1:5
	;; [unrolled: 1-line block ×4, first 2 shown]
.LBB0_13:
	s_or_b32 exec_lo, exec_lo, s1
	v_and_b32_e32 v1, 0xff, v20
	v_mov_b32_e32 v13, 5
	s_waitcnt lgkmcnt(0)
	s_barrier
	buffer_gl0_inv
	v_mul_lo_u16 v1, 0xcd, v1
	v_lshrrev_b16 v1, 11, v1
	v_mul_lo_u16 v12, v1, 10
	v_sub_nc_u16 v16, v20, v12
	v_lshlrev_b32_sdwa v17, v13, v16 dst_sel:DWORD dst_unused:UNUSED_PAD src0_sel:DWORD src1_sel:BYTE_0
	s_clause 0x1
	global_load_dwordx4 v[12:15], v17, s[8:9]
	global_load_dwordx4 v[25:28], v17, s[8:9] offset:16
	ds_read2_b64 v[29:32], v24 offset0:100 offset1:200
	ds_read2_b64 v[33:36], v0 offset0:44 offset1:144
	v_mov_b32_e32 v0, 0x190
	v_mov_b32_e32 v17, 3
	ds_read2_b32 v[18:19], v24 offset1:1
	s_waitcnt vmcnt(0) lgkmcnt(0)
	s_barrier
	v_mul_u32_u24_sdwa v0, v1, v0 dst_sel:DWORD dst_unused:UNUSED_PAD src0_sel:WORD_0 src1_sel:DWORD
	v_lshlrev_b32_sdwa v1, v17, v16 dst_sel:DWORD dst_unused:UNUSED_PAD src0_sel:DWORD src1_sel:BYTE_0
	buffer_gl0_inv
	v_add3_u32 v21, 0, v0, v1
	v_mul_f32_e32 v0, v13, v30
	v_mul_f32_e32 v1, v13, v29
	;; [unrolled: 1-line block ×8, first 2 shown]
	v_fma_f32 v0, v12, v29, -v0
	v_fmac_f32_e32 v1, v12, v30
	v_fma_f32 v12, v14, v31, -v13
	v_fmac_f32_e32 v15, v14, v32
	;; [unrolled: 2-line block ×3, first 2 shown]
	v_fmac_f32_e32 v17, v25, v34
	v_fma_f32 v25, v27, v35, -v26
	v_add_f32_e32 v14, v0, v18
	v_add_f32_e32 v16, v12, v13
	;; [unrolled: 1-line block ×6, first 2 shown]
	v_sub_f32_e32 v26, v1, v28
	v_sub_f32_e32 v27, v15, v17
	;; [unrolled: 1-line block ×8, first 2 shown]
	v_add_f32_e32 v12, v14, v12
	v_fma_f32 v0, -0.5, v16, v18
	v_fma_f32 v18, -0.5, v31, v18
	v_add_f32_e32 v15, v34, v15
	v_fma_f32 v1, -0.5, v35, v19
	v_fmac_f32_e32 v19, -0.5, v40
	v_sub_f32_e32 v30, v25, v13
	v_sub_f32_e32 v33, v13, v25
	;; [unrolled: 1-line block ×4, first 2 shown]
	v_add_f32_e32 v12, v12, v13
	v_fmamk_f32 v14, v26, 0x3f737871, v0
	v_fmac_f32_e32 v0, 0xbf737871, v26
	v_fmamk_f32 v16, v27, 0xbf737871, v18
	v_fmac_f32_e32 v18, 0x3f737871, v27
	v_add_f32_e32 v13, v15, v17
	v_fmamk_f32 v15, v36, 0xbf737871, v1
	v_fmac_f32_e32 v1, 0x3f737871, v36
	v_fmamk_f32 v17, v37, 0x3f737871, v19
	v_fmac_f32_e32 v19, 0xbf737871, v37
	v_add_f32_e32 v29, v29, v30
	v_add_f32_e32 v30, v32, v33
	;; [unrolled: 1-line block ×4, first 2 shown]
	v_fmac_f32_e32 v14, 0x3f167918, v27
	v_fmac_f32_e32 v0, 0xbf167918, v27
	v_fmac_f32_e32 v16, 0x3f167918, v26
	v_fmac_f32_e32 v18, 0xbf167918, v26
	v_fmac_f32_e32 v15, 0xbf167918, v37
	v_fmac_f32_e32 v1, 0x3f167918, v37
	v_fmac_f32_e32 v17, 0xbf167918, v36
	v_fmac_f32_e32 v19, 0x3f167918, v36
	v_add_f32_e32 v12, v12, v25
	v_add_f32_e32 v13, v13, v28
	v_fmac_f32_e32 v14, 0x3e9e377a, v29
	v_fmac_f32_e32 v0, 0x3e9e377a, v29
	;; [unrolled: 1-line block ×8, first 2 shown]
	ds_write2_b64 v21, v[12:13], v[14:15] offset1:10
	ds_write2_b64 v21, v[16:17], v[18:19] offset0:20 offset1:30
	ds_write_b64 v21, v[0:1] offset:320
	s_waitcnt lgkmcnt(0)
	s_barrier
	buffer_gl0_inv
	s_and_saveexec_b32 s1, s0
	s_cbranch_execz .LBB0_15
; %bb.14:
	v_add_nc_u32_e32 v8, 0x800, v24
	ds_read2_b64 v[12:15], v24 offset1:50
	ds_read2_b64 v[16:19], v24 offset0:100 offset1:150
	ds_read2_b64 v[0:3], v24 offset0:200 offset1:250
	;; [unrolled: 1-line block ×4, first 2 shown]
.LBB0_15:
	s_or_b32 exec_lo, exec_lo, s1
	s_waitcnt lgkmcnt(0)
	s_barrier
	buffer_gl0_inv
	s_and_saveexec_b32 s4, s0
	s_cbranch_execz .LBB0_17
; %bb.16:
	v_subrev_nc_u32_e32 v21, 50, v20
	v_mov_b32_e32 v26, 0
	v_cndmask_b32_e64 v21, v21, v20, s0
	v_mul_i32_i24_e32 v25, 9, v21
	v_add_nc_u32_e32 v21, 0x800, v24
	v_lshlrev_b64 v[25:26], 3, v[25:26]
	v_add_co_u32 v41, s1, s8, v25
	v_add_co_ci_u32_e64 v42, s1, s9, v26, s1
	s_clause 0x4
	global_load_dwordx4 v[25:28], v[41:42], off offset:320
	global_load_dwordx4 v[29:32], v[41:42], off offset:336
	;; [unrolled: 1-line block ×4, first 2 shown]
	global_load_dwordx2 v[41:42], v[41:42], off offset:384
	s_waitcnt vmcnt(4)
	v_mul_f32_e32 v43, v16, v28
	s_waitcnt vmcnt(3)
	v_mul_f32_e32 v44, v0, v32
	;; [unrolled: 2-line block ×4, first 2 shown]
	v_mul_f32_e32 v36, v9, v36
	v_mul_f32_e32 v47, v19, v30
	;; [unrolled: 1-line block ×3, first 2 shown]
	s_waitcnt vmcnt(0)
	v_mul_f32_e32 v49, v11, v42
	v_mul_f32_e32 v50, v7, v34
	;; [unrolled: 1-line block ×11, first 2 shown]
	v_fmac_f32_e32 v43, v17, v27
	v_fmac_f32_e32 v44, v1, v31
	;; [unrolled: 1-line block ×4, first 2 shown]
	v_fma_f32 v5, v8, v35, -v36
	v_fma_f32 v8, v18, v29, -v47
	;; [unrolled: 1-line block ×5, first 2 shown]
	v_fmac_f32_e32 v38, v3, v37
	v_fmac_f32_e32 v34, v7, v33
	;; [unrolled: 1-line block ×4, first 2 shown]
	v_fma_f32 v0, v0, v31, -v32
	v_fma_f32 v1, v4, v39, -v40
	v_fma_f32 v4, v16, v27, -v28
	v_fma_f32 v10, v14, v25, -v51
	v_fmac_f32_e32 v26, v15, v25
	v_sub_f32_e32 v3, v43, v44
	v_sub_f32_e32 v7, v45, v46
	v_add_f32_e32 v15, v44, v46
	v_sub_f32_e32 v16, v8, v2
	v_sub_f32_e32 v17, v9, v6
	v_add_f32_e32 v18, v2, v6
	v_add_f32_e32 v32, v38, v34
	;; [unrolled: 1-line block ×4, first 2 shown]
	v_sub_f32_e32 v14, v4, v5
	v_sub_f32_e32 v19, v30, v42
	;; [unrolled: 1-line block ×6, first 2 shown]
	v_add_f32_e32 v56, v4, v5
	v_add_f32_e32 v4, v12, v4
	;; [unrolled: 1-line block ×4, first 2 shown]
	v_fma_f32 v57, -0.5, v15, v13
	v_add_f32_e32 v7, v16, v17
	v_fma_f32 v15, -0.5, v18, v10
	v_fma_f32 v17, -0.5, v32, v26
	v_sub_f32_e32 v25, v38, v34
	v_sub_f32_e32 v27, v30, v38
	v_sub_f32_e32 v28, v42, v34
	v_sub_f32_e32 v29, v2, v6
	v_add_f32_e32 v36, v43, v45
	v_sub_f32_e32 v39, v6, v9
	v_sub_f32_e32 v41, v38, v30
	v_add_f32_e32 v49, v13, v43
	v_add_f32_e32 v30, v26, v30
	v_fma_f32 v10, -0.5, v40, v10
	v_fma_f32 v26, -0.5, v48, v26
	v_sub_f32_e32 v11, v0, v1
	v_sub_f32_e32 v33, v44, v43
	;; [unrolled: 1-line block ×3, first 2 shown]
	v_add_f32_e32 v52, v0, v1
	v_add_f32_e32 v0, v4, v0
	;; [unrolled: 1-line block ×3, first 2 shown]
	v_fmamk_f32 v4, v19, 0xbf737871, v15
	v_fmamk_f32 v8, v31, 0x3f737871, v17
	v_fmac_f32_e32 v17, 0xbf737871, v31
	v_fmac_f32_e32 v15, 0x3f737871, v19
	v_sub_f32_e32 v47, v34, v42
	v_add_f32_e32 v16, v27, v28
	v_fma_f32 v27, -0.5, v36, v13
	v_add_f32_e32 v13, v37, v39
	v_add_f32_e32 v32, v49, v44
	;; [unrolled: 1-line block ×3, first 2 shown]
	v_fmamk_f32 v39, v25, 0x3f737871, v10
	v_fmamk_f32 v40, v29, 0xbf737871, v26
	v_fmac_f32_e32 v26, 0x3f737871, v29
	v_fmac_f32_e32 v10, 0xbf737871, v25
	v_sub_f32_e32 v43, v43, v45
	v_add_f32_e32 v18, v33, v35
	v_fma_f32 v35, -0.5, v52, v12
	v_fmac_f32_e32 v17, 0xbf167918, v29
	v_fmac_f32_e32 v15, 0x3f167918, v25
	v_sub_f32_e32 v51, v5, v1
	v_sub_f32_e32 v53, v44, v46
	;; [unrolled: 1-line block ×3, first 2 shown]
	v_add_f32_e32 v28, v41, v47
	v_fma_f32 v12, -0.5, v56, v12
	v_fmamk_f32 v37, v14, 0x3f737871, v57
	v_fmac_f32_e32 v57, 0xbf737871, v14
	v_add_f32_e32 v32, v32, v46
	v_add_f32_e32 v30, v30, v34
	;; [unrolled: 1-line block ×4, first 2 shown]
	v_fmac_f32_e32 v39, 0xbf167918, v19
	v_fmac_f32_e32 v40, 0x3f167918, v31
	;; [unrolled: 1-line block ×6, first 2 shown]
	v_fmamk_f32 v34, v43, 0xbf737871, v35
	v_fmac_f32_e32 v35, 0x3f737871, v43
	v_fmac_f32_e32 v17, 0x3e9e377a, v16
	;; [unrolled: 1-line block ×3, first 2 shown]
	v_fmamk_f32 v38, v11, 0xbf737871, v27
	v_fmac_f32_e32 v27, 0x3f737871, v11
	v_fmamk_f32 v41, v53, 0x3f737871, v12
	v_fmac_f32_e32 v12, 0xbf737871, v53
	v_fmac_f32_e32 v37, 0x3f167918, v11
	;; [unrolled: 1-line block ×3, first 2 shown]
	v_add_f32_e32 v2, v32, v45
	v_add_f32_e32 v6, v30, v42
	;; [unrolled: 1-line block ×4, first 2 shown]
	v_fmac_f32_e32 v39, 0x3e9e377a, v13
	v_fmac_f32_e32 v40, 0x3e9e377a, v28
	;; [unrolled: 1-line block ×6, first 2 shown]
	v_add_f32_e32 v33, v50, v51
	v_fmac_f32_e32 v35, 0x3f167918, v53
	v_mul_f32_e32 v16, 0xbf167918, v15
	v_mul_f32_e32 v28, 0x3f167918, v17
	v_add_f32_e32 v36, v54, v55
	v_fmac_f32_e32 v38, 0x3f167918, v14
	v_fmac_f32_e32 v27, 0xbf167918, v14
	;; [unrolled: 1-line block ×6, first 2 shown]
	v_sub_f32_e32 v1, v2, v6
	v_sub_f32_e32 v0, v5, v9
	v_add_f32_e32 v3, v2, v6
	v_add_f32_e32 v2, v5, v9
	v_mul_f32_e32 v6, 0x3e9e377a, v40
	v_mul_f32_e32 v14, 0xbf737871, v10
	v_mul_f32_e32 v9, 0x3e9e377a, v39
	v_mul_f32_e32 v25, 0x3f737871, v26
	v_fmac_f32_e32 v34, 0xbf167918, v53
	v_mul_f32_e32 v5, 0x3f4f1bbd, v8
	v_mul_f32_e32 v7, 0x3f4f1bbd, v4
	v_fmac_f32_e32 v35, 0x3e9e377a, v33
	v_fmac_f32_e32 v16, 0x3f4f1bbd, v17
	;; [unrolled: 1-line block ×7, first 2 shown]
	v_fma_f32 v6, 0xbf737871, v39, -v6
	v_fmac_f32_e32 v14, 0x3e9e377a, v26
	v_fma_f32 v29, 0x3f737871, v40, -v9
	v_fmac_f32_e32 v25, 0x3e9e377a, v10
	v_fmac_f32_e32 v34, 0x3e9e377a, v33
	v_fma_f32 v13, 0xbf167918, v4, -v5
	v_fma_f32 v26, 0x3f167918, v8, -v7
	v_add_f32_e32 v19, v57, v16
	v_add_f32_e32 v18, v35, v28
	v_sub_f32_e32 v9, v27, v14
	v_sub_f32_e32 v11, v57, v16
	v_add_f32_e32 v15, v38, v6
	v_add_f32_e32 v17, v27, v14
	;; [unrolled: 1-line block ×4, first 2 shown]
	v_sub_f32_e32 v5, v37, v13
	v_sub_f32_e32 v8, v12, v25
	v_add_f32_e32 v13, v37, v13
	v_add_f32_e32 v12, v34, v26
	v_sub_f32_e32 v10, v35, v28
	v_sub_f32_e32 v7, v38, v6
	;; [unrolled: 1-line block ×4, first 2 shown]
	ds_write2_b64 v24, v[2:3], v[18:19] offset1:50
	ds_write2_b64 v24, v[16:17], v[14:15] offset0:100 offset1:150
	ds_write2_b64 v24, v[12:13], v[0:1] offset0:200 offset1:250
	;; [unrolled: 1-line block ×4, first 2 shown]
.LBB0_17:
	s_or_b32 exec_lo, exec_lo, s4
	s_waitcnt lgkmcnt(0)
	s_barrier
	buffer_gl0_inv
	ds_read_b64 v[0:1], v24
	v_lshlrev_b32_e32 v2, 3, v20
	s_add_u32 s4, s8, 0xf50
	s_addc_u32 s5, s9, 0
	s_mov_b32 s6, exec_lo
                                        ; implicit-def: $vgpr3
                                        ; implicit-def: $vgpr7
                                        ; implicit-def: $vgpr4_vgpr5
	v_sub_nc_u32_e32 v6, 0, v2
	v_cmpx_ne_u32_e32 0, v20
	s_xor_b32 s6, exec_lo, s6
	s_cbranch_execz .LBB0_19
; %bb.18:
	v_mov_b32_e32 v21, 0
	ds_read_b64 v[7:8], v6 offset:4000
	v_lshlrev_b64 v[2:3], 3, v[20:21]
	v_add_co_u32 v2, s1, s4, v2
	v_add_co_ci_u32_e64 v3, s1, s5, v3, s1
	global_load_dwordx2 v[3:4], v[2:3], off
	s_waitcnt lgkmcnt(0)
	v_sub_f32_e32 v2, v0, v7
	v_add_f32_e32 v5, v8, v1
	v_sub_f32_e32 v1, v1, v8
	v_add_f32_e32 v0, v7, v0
	v_mul_f32_e32 v8, 0.5, v2
	v_mul_f32_e32 v2, 0.5, v5
	;; [unrolled: 1-line block ×3, first 2 shown]
	s_waitcnt vmcnt(0)
	v_mul_f32_e32 v5, v4, v8
	v_fma_f32 v7, v2, v4, v1
	v_fma_f32 v1, v2, v4, -v1
	v_fma_f32 v9, 0.5, v0, v5
	v_fma_f32 v0, v0, 0.5, -v5
	v_mov_b32_e32 v4, v20
	v_fma_f32 v7, -v3, v8, v7
	v_mov_b32_e32 v5, v21
	v_fmac_f32_e32 v9, v3, v2
	v_fma_f32 v2, -v3, v2, v0
	v_fma_f32 v3, -v3, v8, v1
                                        ; implicit-def: $vgpr0_vgpr1
	ds_write_b32 v24, v9
.LBB0_19:
	s_andn2_saveexec_b32 s1, s6
	s_cbranch_execz .LBB0_21
; %bb.20:
	v_mov_b32_e32 v7, 0
	v_mov_b32_e32 v4, 0
	s_waitcnt lgkmcnt(0)
	v_add_f32_e32 v8, v0, v1
	v_sub_f32_e32 v2, v0, v1
	v_mov_b32_e32 v5, 0
	ds_read_b32 v3, v7 offset:2004
	s_waitcnt lgkmcnt(0)
	v_xor_b32_e32 v0, 0x80000000, v3
	v_mov_b32_e32 v3, v7
	ds_write_b32 v24, v8
	ds_write_b32 v7, v0 offset:2004
.LBB0_21:
	s_or_b32 exec_lo, exec_lo, s1
	s_waitcnt lgkmcnt(0)
	v_lshlrev_b64 v[0:1], 3, v[4:5]
	v_add_co_u32 v4, s1, s4, v0
	v_add_co_ci_u32_e64 v5, s1, s5, v1, s1
	global_load_dwordx2 v[8:9], v[4:5], off offset:800
	ds_write_b32 v24, v7 offset:4
	ds_write_b64 v6, v[2:3] offset:4000
	ds_read_b64 v[2:3], v24 offset:800
	ds_read_b64 v[10:11], v6 offset:3200
	s_waitcnt lgkmcnt(0)
	v_sub_f32_e32 v7, v2, v10
	v_add_f32_e32 v12, v3, v11
	v_sub_f32_e32 v3, v3, v11
	v_add_f32_e32 v10, v2, v10
	v_mul_f32_e32 v7, 0.5, v7
	v_mul_f32_e32 v11, 0.5, v12
	;; [unrolled: 1-line block ×3, first 2 shown]
	s_waitcnt vmcnt(0)
	v_mul_f32_e32 v12, v9, v7
	v_fma_f32 v13, v11, v9, v3
	v_fma_f32 v9, v11, v9, -v3
	v_fma_f32 v2, 0.5, v10, v12
	v_fma_f32 v10, v10, 0.5, -v12
	v_fma_f32 v3, -v8, v7, v13
	v_fma_f32 v9, -v8, v7, v9
	v_fmac_f32_e32 v2, v8, v11
	v_fma_f32 v8, -v8, v11, v10
	ds_write_b64 v24, v[2:3] offset:800
	ds_write_b64 v6, v[8:9] offset:3200
	s_and_saveexec_b32 s1, s0
	s_cbranch_execz .LBB0_23
; %bb.22:
	global_load_dwordx2 v[2:3], v[4:5], off offset:1600
	ds_read_b64 v[4:5], v24 offset:1600
	ds_read_b64 v[7:8], v6 offset:2400
	s_waitcnt lgkmcnt(0)
	v_sub_f32_e32 v9, v4, v7
	v_add_f32_e32 v10, v5, v8
	v_sub_f32_e32 v5, v5, v8
	v_add_f32_e32 v4, v4, v7
	v_mul_f32_e32 v8, 0.5, v9
	v_mul_f32_e32 v9, 0.5, v10
	;; [unrolled: 1-line block ×3, first 2 shown]
	s_waitcnt vmcnt(0)
	v_mul_f32_e32 v7, v3, v8
	v_fma_f32 v10, v9, v3, v5
	v_fma_f32 v5, v9, v3, -v5
	v_fma_f32 v3, 0.5, v4, v7
	v_fma_f32 v7, v4, 0.5, -v7
	v_fma_f32 v4, -v2, v8, v10
	v_fma_f32 v8, -v2, v8, v5
	v_fmac_f32_e32 v3, v2, v9
	v_fma_f32 v7, -v2, v9, v7
	ds_write_b64 v24, v[3:4] offset:1600
	ds_write_b64 v6, v[7:8] offset:2400
.LBB0_23:
	s_or_b32 exec_lo, exec_lo, s1
	s_waitcnt lgkmcnt(0)
	s_barrier
	buffer_gl0_inv
	s_and_saveexec_b32 s0, vcc_lo
	s_cbranch_execz .LBB0_26
; %bb.24:
	v_add_nc_u32_e32 v2, 0x400, v24
	ds_read2_b64 v[4:7], v24 offset1:100
	ds_read2_b64 v[8:11], v2 offset0:72 offset1:172
	ds_read_b64 v[12:13], v24 offset:3200
	v_add_co_u32 v2, vcc_lo, s2, v22
	v_add_co_ci_u32_e32 v3, vcc_lo, s3, v23, vcc_lo
	v_add_co_u32 v0, vcc_lo, v2, v0
	v_add_co_ci_u32_e32 v1, vcc_lo, v3, v1, vcc_lo
	;; [unrolled: 2-line block ×3, first 2 shown]
	v_cmp_eq_u32_e32 vcc_lo, 0x63, v20
	s_waitcnt lgkmcnt(2)
	global_store_dwordx2 v[0:1], v[4:5], off
	global_store_dwordx2 v[0:1], v[6:7], off offset:800
	s_waitcnt lgkmcnt(1)
	global_store_dwordx2 v[0:1], v[8:9], off offset:1600
	global_store_dwordx2 v[14:15], v[10:11], off offset:352
	s_waitcnt lgkmcnt(0)
	global_store_dwordx2 v[14:15], v[12:13], off offset:1152
	s_and_b32 exec_lo, exec_lo, vcc_lo
	s_cbranch_execz .LBB0_26
; %bb.25:
	v_mov_b32_e32 v0, 0
	v_add_co_u32 v2, vcc_lo, 0x800, v2
	v_add_co_ci_u32_e32 v3, vcc_lo, 0, v3, vcc_lo
	ds_read_b64 v[0:1], v0 offset:4000
	s_waitcnt lgkmcnt(0)
	global_store_dwordx2 v[2:3], v[0:1], off offset:1952
.LBB0_26:
	s_endpgm
	.section	.rodata,"a",@progbits
	.p2align	6, 0x0
	.amdhsa_kernel fft_rtc_fwd_len500_factors_10_5_10_wgs_100_tpt_100_halfLds_sp_ip_CI_unitstride_sbrr_R2C_dirReg
		.amdhsa_group_segment_fixed_size 0
		.amdhsa_private_segment_fixed_size 0
		.amdhsa_kernarg_size 88
		.amdhsa_user_sgpr_count 6
		.amdhsa_user_sgpr_private_segment_buffer 1
		.amdhsa_user_sgpr_dispatch_ptr 0
		.amdhsa_user_sgpr_queue_ptr 0
		.amdhsa_user_sgpr_kernarg_segment_ptr 1
		.amdhsa_user_sgpr_dispatch_id 0
		.amdhsa_user_sgpr_flat_scratch_init 0
		.amdhsa_user_sgpr_private_segment_size 0
		.amdhsa_wavefront_size32 1
		.amdhsa_uses_dynamic_stack 0
		.amdhsa_system_sgpr_private_segment_wavefront_offset 0
		.amdhsa_system_sgpr_workgroup_id_x 1
		.amdhsa_system_sgpr_workgroup_id_y 0
		.amdhsa_system_sgpr_workgroup_id_z 0
		.amdhsa_system_sgpr_workgroup_info 0
		.amdhsa_system_vgpr_workitem_id 0
		.amdhsa_next_free_vgpr 58
		.amdhsa_next_free_sgpr 21
		.amdhsa_reserve_vcc 1
		.amdhsa_reserve_flat_scratch 0
		.amdhsa_float_round_mode_32 0
		.amdhsa_float_round_mode_16_64 0
		.amdhsa_float_denorm_mode_32 3
		.amdhsa_float_denorm_mode_16_64 3
		.amdhsa_dx10_clamp 1
		.amdhsa_ieee_mode 1
		.amdhsa_fp16_overflow 0
		.amdhsa_workgroup_processor_mode 1
		.amdhsa_memory_ordered 1
		.amdhsa_forward_progress 0
		.amdhsa_shared_vgpr_count 0
		.amdhsa_exception_fp_ieee_invalid_op 0
		.amdhsa_exception_fp_denorm_src 0
		.amdhsa_exception_fp_ieee_div_zero 0
		.amdhsa_exception_fp_ieee_overflow 0
		.amdhsa_exception_fp_ieee_underflow 0
		.amdhsa_exception_fp_ieee_inexact 0
		.amdhsa_exception_int_div_zero 0
	.end_amdhsa_kernel
	.text
.Lfunc_end0:
	.size	fft_rtc_fwd_len500_factors_10_5_10_wgs_100_tpt_100_halfLds_sp_ip_CI_unitstride_sbrr_R2C_dirReg, .Lfunc_end0-fft_rtc_fwd_len500_factors_10_5_10_wgs_100_tpt_100_halfLds_sp_ip_CI_unitstride_sbrr_R2C_dirReg
                                        ; -- End function
	.section	.AMDGPU.csdata,"",@progbits
; Kernel info:
; codeLenInByte = 5136
; NumSgprs: 23
; NumVgprs: 58
; ScratchSize: 0
; MemoryBound: 0
; FloatMode: 240
; IeeeMode: 1
; LDSByteSize: 0 bytes/workgroup (compile time only)
; SGPRBlocks: 2
; VGPRBlocks: 7
; NumSGPRsForWavesPerEU: 23
; NumVGPRsForWavesPerEU: 58
; Occupancy: 16
; WaveLimiterHint : 1
; COMPUTE_PGM_RSRC2:SCRATCH_EN: 0
; COMPUTE_PGM_RSRC2:USER_SGPR: 6
; COMPUTE_PGM_RSRC2:TRAP_HANDLER: 0
; COMPUTE_PGM_RSRC2:TGID_X_EN: 1
; COMPUTE_PGM_RSRC2:TGID_Y_EN: 0
; COMPUTE_PGM_RSRC2:TGID_Z_EN: 0
; COMPUTE_PGM_RSRC2:TIDIG_COMP_CNT: 0
	.text
	.p2alignl 6, 3214868480
	.fill 48, 4, 3214868480
	.type	__hip_cuid_45dc463c77a60cfd,@object ; @__hip_cuid_45dc463c77a60cfd
	.section	.bss,"aw",@nobits
	.globl	__hip_cuid_45dc463c77a60cfd
__hip_cuid_45dc463c77a60cfd:
	.byte	0                               ; 0x0
	.size	__hip_cuid_45dc463c77a60cfd, 1

	.ident	"AMD clang version 19.0.0git (https://github.com/RadeonOpenCompute/llvm-project roc-6.4.0 25133 c7fe45cf4b819c5991fe208aaa96edf142730f1d)"
	.section	".note.GNU-stack","",@progbits
	.addrsig
	.addrsig_sym __hip_cuid_45dc463c77a60cfd
	.amdgpu_metadata
---
amdhsa.kernels:
  - .args:
      - .actual_access:  read_only
        .address_space:  global
        .offset:         0
        .size:           8
        .value_kind:     global_buffer
      - .offset:         8
        .size:           8
        .value_kind:     by_value
      - .actual_access:  read_only
        .address_space:  global
        .offset:         16
        .size:           8
        .value_kind:     global_buffer
      - .actual_access:  read_only
        .address_space:  global
        .offset:         24
        .size:           8
        .value_kind:     global_buffer
      - .offset:         32
        .size:           8
        .value_kind:     by_value
      - .actual_access:  read_only
        .address_space:  global
        .offset:         40
        .size:           8
        .value_kind:     global_buffer
      - .actual_access:  read_only
        .address_space:  global
        .offset:         48
        .size:           8
        .value_kind:     global_buffer
      - .offset:         56
        .size:           4
        .value_kind:     by_value
      - .actual_access:  read_only
        .address_space:  global
        .offset:         64
        .size:           8
        .value_kind:     global_buffer
      - .actual_access:  read_only
        .address_space:  global
        .offset:         72
        .size:           8
        .value_kind:     global_buffer
      - .address_space:  global
        .offset:         80
        .size:           8
        .value_kind:     global_buffer
    .group_segment_fixed_size: 0
    .kernarg_segment_align: 8
    .kernarg_segment_size: 88
    .language:       OpenCL C
    .language_version:
      - 2
      - 0
    .max_flat_workgroup_size: 100
    .name:           fft_rtc_fwd_len500_factors_10_5_10_wgs_100_tpt_100_halfLds_sp_ip_CI_unitstride_sbrr_R2C_dirReg
    .private_segment_fixed_size: 0
    .sgpr_count:     23
    .sgpr_spill_count: 0
    .symbol:         fft_rtc_fwd_len500_factors_10_5_10_wgs_100_tpt_100_halfLds_sp_ip_CI_unitstride_sbrr_R2C_dirReg.kd
    .uniform_work_group_size: 1
    .uses_dynamic_stack: false
    .vgpr_count:     58
    .vgpr_spill_count: 0
    .wavefront_size: 32
    .workgroup_processor_mode: 1
amdhsa.target:   amdgcn-amd-amdhsa--gfx1030
amdhsa.version:
  - 1
  - 2
...

	.end_amdgpu_metadata
